;; amdgpu-corpus repo=ROCm/rocFFT kind=compiled arch=gfx906 opt=O3
	.text
	.amdgcn_target "amdgcn-amd-amdhsa--gfx906"
	.amdhsa_code_object_version 6
	.protected	fft_rtc_fwd_len1274_factors_2_13_7_7_wgs_182_tpt_182_halfLds_dp_op_CI_CI_sbrr_dirReg ; -- Begin function fft_rtc_fwd_len1274_factors_2_13_7_7_wgs_182_tpt_182_halfLds_dp_op_CI_CI_sbrr_dirReg
	.globl	fft_rtc_fwd_len1274_factors_2_13_7_7_wgs_182_tpt_182_halfLds_dp_op_CI_CI_sbrr_dirReg
	.p2align	8
	.type	fft_rtc_fwd_len1274_factors_2_13_7_7_wgs_182_tpt_182_halfLds_dp_op_CI_CI_sbrr_dirReg,@function
fft_rtc_fwd_len1274_factors_2_13_7_7_wgs_182_tpt_182_halfLds_dp_op_CI_CI_sbrr_dirReg: ; @fft_rtc_fwd_len1274_factors_2_13_7_7_wgs_182_tpt_182_halfLds_dp_op_CI_CI_sbrr_dirReg
; %bb.0:
	s_load_dwordx4 s[16:19], s[4:5], 0x18
	s_load_dwordx4 s[12:15], s[4:5], 0x0
	;; [unrolled: 1-line block ×3, first 2 shown]
	v_mul_u32_u24_e32 v1, 0x169, v0
	v_add_u32_sdwa v6, s6, v1 dst_sel:DWORD dst_unused:UNUSED_PAD src0_sel:DWORD src1_sel:WORD_1
	s_waitcnt lgkmcnt(0)
	s_load_dwordx2 s[2:3], s[16:17], 0x0
	s_load_dwordx2 s[20:21], s[18:19], 0x0
	v_cmp_lt_u64_e64 s[0:1], s[14:15], 2
	v_mov_b32_e32 v1, 0
	v_mov_b32_e32 v4, 0
	;; [unrolled: 1-line block ×3, first 2 shown]
	s_and_b64 vcc, exec, s[0:1]
	v_mov_b32_e32 v5, 0
	s_cbranch_vccnz .LBB0_8
; %bb.1:
	s_load_dwordx2 s[0:1], s[4:5], 0x10
	s_add_u32 s6, s18, 8
	s_addc_u32 s7, s19, 0
	s_add_u32 s22, s16, 8
	v_mov_b32_e32 v4, 0
	s_addc_u32 s23, s17, 0
	v_mov_b32_e32 v5, 0
	s_waitcnt lgkmcnt(0)
	s_add_u32 s24, s0, 8
	v_mov_b32_e32 v55, v5
	s_addc_u32 s25, s1, 0
	s_mov_b64 s[26:27], 1
	v_mov_b32_e32 v54, v4
.LBB0_2:                                ; =>This Inner Loop Header: Depth=1
	s_load_dwordx2 s[28:29], s[24:25], 0x0
                                        ; implicit-def: $vgpr56_vgpr57
	s_waitcnt lgkmcnt(0)
	v_or_b32_e32 v2, s29, v7
	v_cmp_ne_u64_e32 vcc, 0, v[1:2]
	s_and_saveexec_b64 s[0:1], vcc
	s_xor_b64 s[30:31], exec, s[0:1]
	s_cbranch_execz .LBB0_4
; %bb.3:                                ;   in Loop: Header=BB0_2 Depth=1
	v_cvt_f32_u32_e32 v2, s28
	v_cvt_f32_u32_e32 v3, s29
	s_sub_u32 s0, 0, s28
	s_subb_u32 s1, 0, s29
	v_mac_f32_e32 v2, 0x4f800000, v3
	v_rcp_f32_e32 v2, v2
	v_mul_f32_e32 v2, 0x5f7ffffc, v2
	v_mul_f32_e32 v3, 0x2f800000, v2
	v_trunc_f32_e32 v3, v3
	v_mac_f32_e32 v2, 0xcf800000, v3
	v_cvt_u32_f32_e32 v3, v3
	v_cvt_u32_f32_e32 v2, v2
	v_mul_lo_u32 v8, s0, v3
	v_mul_hi_u32 v9, s0, v2
	v_mul_lo_u32 v11, s1, v2
	v_mul_lo_u32 v10, s0, v2
	v_add_u32_e32 v8, v9, v8
	v_add_u32_e32 v8, v8, v11
	v_mul_hi_u32 v9, v2, v10
	v_mul_lo_u32 v11, v2, v8
	v_mul_hi_u32 v13, v2, v8
	v_mul_hi_u32 v12, v3, v10
	v_mul_lo_u32 v10, v3, v10
	v_mul_hi_u32 v14, v3, v8
	v_add_co_u32_e32 v9, vcc, v9, v11
	v_addc_co_u32_e32 v11, vcc, 0, v13, vcc
	v_mul_lo_u32 v8, v3, v8
	v_add_co_u32_e32 v9, vcc, v9, v10
	v_addc_co_u32_e32 v9, vcc, v11, v12, vcc
	v_addc_co_u32_e32 v10, vcc, 0, v14, vcc
	v_add_co_u32_e32 v8, vcc, v9, v8
	v_addc_co_u32_e32 v9, vcc, 0, v10, vcc
	v_add_co_u32_e32 v2, vcc, v2, v8
	v_addc_co_u32_e32 v3, vcc, v3, v9, vcc
	v_mul_lo_u32 v8, s0, v3
	v_mul_hi_u32 v9, s0, v2
	v_mul_lo_u32 v10, s1, v2
	v_mul_lo_u32 v11, s0, v2
	v_add_u32_e32 v8, v9, v8
	v_add_u32_e32 v8, v8, v10
	v_mul_lo_u32 v12, v2, v8
	v_mul_hi_u32 v13, v2, v11
	v_mul_hi_u32 v14, v2, v8
	;; [unrolled: 1-line block ×3, first 2 shown]
	v_mul_lo_u32 v11, v3, v11
	v_mul_hi_u32 v9, v3, v8
	v_add_co_u32_e32 v12, vcc, v13, v12
	v_addc_co_u32_e32 v13, vcc, 0, v14, vcc
	v_mul_lo_u32 v8, v3, v8
	v_add_co_u32_e32 v11, vcc, v12, v11
	v_addc_co_u32_e32 v10, vcc, v13, v10, vcc
	v_addc_co_u32_e32 v9, vcc, 0, v9, vcc
	v_add_co_u32_e32 v8, vcc, v10, v8
	v_addc_co_u32_e32 v9, vcc, 0, v9, vcc
	v_add_co_u32_e32 v8, vcc, v2, v8
	v_addc_co_u32_e32 v9, vcc, v3, v9, vcc
	v_mad_u64_u32 v[2:3], s[0:1], v6, v9, 0
	v_mul_hi_u32 v10, v6, v8
	v_add_co_u32_e32 v10, vcc, v10, v2
	v_addc_co_u32_e32 v11, vcc, 0, v3, vcc
	v_mad_u64_u32 v[2:3], s[0:1], v7, v8, 0
	v_mad_u64_u32 v[8:9], s[0:1], v7, v9, 0
	v_add_co_u32_e32 v2, vcc, v10, v2
	v_addc_co_u32_e32 v2, vcc, v11, v3, vcc
	v_addc_co_u32_e32 v3, vcc, 0, v9, vcc
	v_add_co_u32_e32 v8, vcc, v2, v8
	v_addc_co_u32_e32 v9, vcc, 0, v3, vcc
	v_mul_lo_u32 v10, s29, v8
	v_mul_lo_u32 v11, s28, v9
	v_mad_u64_u32 v[2:3], s[0:1], s28, v8, 0
	v_add3_u32 v3, v3, v11, v10
	v_sub_u32_e32 v10, v7, v3
	v_mov_b32_e32 v11, s29
	v_sub_co_u32_e32 v2, vcc, v6, v2
	v_subb_co_u32_e64 v10, s[0:1], v10, v11, vcc
	v_subrev_co_u32_e64 v11, s[0:1], s28, v2
	v_subbrev_co_u32_e64 v10, s[0:1], 0, v10, s[0:1]
	v_cmp_le_u32_e64 s[0:1], s29, v10
	v_cndmask_b32_e64 v12, 0, -1, s[0:1]
	v_cmp_le_u32_e64 s[0:1], s28, v11
	v_cndmask_b32_e64 v11, 0, -1, s[0:1]
	v_cmp_eq_u32_e64 s[0:1], s29, v10
	v_cndmask_b32_e64 v10, v12, v11, s[0:1]
	v_add_co_u32_e64 v11, s[0:1], 2, v8
	v_addc_co_u32_e64 v12, s[0:1], 0, v9, s[0:1]
	v_add_co_u32_e64 v13, s[0:1], 1, v8
	v_addc_co_u32_e64 v14, s[0:1], 0, v9, s[0:1]
	v_subb_co_u32_e32 v3, vcc, v7, v3, vcc
	v_cmp_ne_u32_e64 s[0:1], 0, v10
	v_cmp_le_u32_e32 vcc, s29, v3
	v_cndmask_b32_e64 v10, v14, v12, s[0:1]
	v_cndmask_b32_e64 v12, 0, -1, vcc
	v_cmp_le_u32_e32 vcc, s28, v2
	v_cndmask_b32_e64 v2, 0, -1, vcc
	v_cmp_eq_u32_e32 vcc, s29, v3
	v_cndmask_b32_e32 v2, v12, v2, vcc
	v_cmp_ne_u32_e32 vcc, 0, v2
	v_cndmask_b32_e64 v2, v13, v11, s[0:1]
	v_cndmask_b32_e32 v57, v9, v10, vcc
	v_cndmask_b32_e32 v56, v8, v2, vcc
.LBB0_4:                                ;   in Loop: Header=BB0_2 Depth=1
	s_andn2_saveexec_b64 s[0:1], s[30:31]
	s_cbranch_execz .LBB0_6
; %bb.5:                                ;   in Loop: Header=BB0_2 Depth=1
	v_cvt_f32_u32_e32 v2, s28
	s_sub_i32 s30, 0, s28
	v_mov_b32_e32 v57, v1
	v_rcp_iflag_f32_e32 v2, v2
	v_mul_f32_e32 v2, 0x4f7ffffe, v2
	v_cvt_u32_f32_e32 v2, v2
	v_mul_lo_u32 v3, s30, v2
	v_mul_hi_u32 v3, v2, v3
	v_add_u32_e32 v2, v2, v3
	v_mul_hi_u32 v2, v6, v2
	v_mul_lo_u32 v3, v2, s28
	v_add_u32_e32 v8, 1, v2
	v_sub_u32_e32 v3, v6, v3
	v_subrev_u32_e32 v9, s28, v3
	v_cmp_le_u32_e32 vcc, s28, v3
	v_cndmask_b32_e32 v3, v3, v9, vcc
	v_cndmask_b32_e32 v2, v2, v8, vcc
	v_add_u32_e32 v8, 1, v2
	v_cmp_le_u32_e32 vcc, s28, v3
	v_cndmask_b32_e32 v56, v2, v8, vcc
.LBB0_6:                                ;   in Loop: Header=BB0_2 Depth=1
	s_or_b64 exec, exec, s[0:1]
	v_mul_lo_u32 v8, v57, s28
	v_mul_lo_u32 v9, v56, s29
	v_mad_u64_u32 v[2:3], s[0:1], v56, s28, 0
	s_load_dwordx2 s[0:1], s[22:23], 0x0
	s_load_dwordx2 s[28:29], s[6:7], 0x0
	v_add3_u32 v3, v3, v9, v8
	v_sub_co_u32_e32 v2, vcc, v6, v2
	v_subb_co_u32_e32 v3, vcc, v7, v3, vcc
	s_waitcnt lgkmcnt(0)
	v_mul_lo_u32 v6, s0, v3
	v_mul_lo_u32 v7, s1, v2
	v_mad_u64_u32 v[4:5], s[0:1], s0, v2, v[4:5]
	v_mul_lo_u32 v3, s28, v3
	v_mul_lo_u32 v8, s29, v2
	v_mad_u64_u32 v[54:55], s[0:1], s28, v2, v[54:55]
	s_add_u32 s26, s26, 1
	s_addc_u32 s27, s27, 0
	s_add_u32 s6, s6, 8
	v_add3_u32 v55, v8, v55, v3
	s_addc_u32 s7, s7, 0
	v_mov_b32_e32 v2, s14
	s_add_u32 s22, s22, 8
	v_mov_b32_e32 v3, s15
	s_addc_u32 s23, s23, 0
	v_cmp_ge_u64_e32 vcc, s[26:27], v[2:3]
	s_add_u32 s24, s24, 8
	v_add3_u32 v5, v7, v5, v6
	s_addc_u32 s25, s25, 0
	s_cbranch_vccnz .LBB0_9
; %bb.7:                                ;   in Loop: Header=BB0_2 Depth=1
	v_mov_b32_e32 v6, v56
	v_mov_b32_e32 v7, v57
	s_branch .LBB0_2
.LBB0_8:
	v_mov_b32_e32 v55, v5
	v_mov_b32_e32 v57, v7
	;; [unrolled: 1-line block ×4, first 2 shown]
.LBB0_9:
	s_load_dwordx2 s[0:1], s[4:5], 0x28
	s_lshl_b64 s[14:15], s[14:15], 3
	s_add_u32 s4, s18, s14
	s_addc_u32 s5, s19, s15
                                        ; implicit-def: $sgpr18
                                        ; implicit-def: $vgpr89
                                        ; implicit-def: $vgpr90
                                        ; implicit-def: $vgpr91
	s_waitcnt lgkmcnt(0)
	v_cmp_gt_u64_e32 vcc, s[0:1], v[56:57]
	v_cmp_le_u64_e64 s[0:1], s[0:1], v[56:57]
	s_and_saveexec_b64 s[6:7], s[0:1]
	s_xor_b64 s[0:1], exec, s[6:7]
; %bb.10:
	s_mov_b32 s6, 0x1681682
	v_mul_hi_u32 v1, v0, s6
	s_mov_b32 s18, 0
                                        ; implicit-def: $vgpr4_vgpr5
	v_mul_u32_u24_e32 v1, 0xb6, v1
	v_sub_u32_e32 v89, v0, v1
	v_add_u32_e32 v90, 0xb6, v89
	v_add_u32_e32 v91, 0x16c, v89
                                        ; implicit-def: $vgpr0
; %bb.11:
	s_or_saveexec_b64 s[6:7], s[0:1]
	s_load_dwordx2 s[4:5], s[4:5], 0x0
	v_mov_b32_e32 v88, s18
                                        ; implicit-def: $vgpr52_vgpr53
                                        ; implicit-def: $vgpr48_vgpr49
                                        ; implicit-def: $vgpr40_vgpr41
                                        ; implicit-def: $vgpr32_vgpr33
                                        ; implicit-def: $vgpr44_vgpr45
                                        ; implicit-def: $vgpr36_vgpr37
                                        ; implicit-def: $vgpr2_vgpr3
                                        ; implicit-def: $vgpr28_vgpr29
	s_xor_b64 exec, exec, s[6:7]
	s_cbranch_execz .LBB0_15
; %bb.12:
	s_add_u32 s0, s16, s14
	s_mov_b32 s14, 0x1681682
	s_addc_u32 s1, s17, s15
	v_mul_hi_u32 v1, v0, s14
	s_load_dwordx2 s[0:1], s[0:1], 0x0
                                        ; implicit-def: $vgpr46_vgpr47
                                        ; implicit-def: $vgpr50_vgpr51
	v_mul_u32_u24_e32 v1, 0xb6, v1
	v_sub_u32_e32 v89, v0, v1
	s_waitcnt lgkmcnt(0)
	v_mul_lo_u32 v8, s1, v56
	v_mad_u64_u32 v[0:1], s[14:15], s2, v89, 0
	v_mul_lo_u32 v9, s0, v57
	v_mad_u64_u32 v[2:3], s[0:1], s0, v56, 0
	v_add_u32_e32 v10, 0x27d, v89
	v_add_u32_e32 v90, 0xb6, v89
	v_mad_u64_u32 v[6:7], s[0:1], s3, v89, v[1:2]
	v_add3_u32 v3, v3, v9, v8
	v_lshlrev_b64 v[2:3], 4, v[2:3]
	v_mov_b32_e32 v1, v6
	v_mov_b32_e32 v6, s9
	v_add_co_u32_e64 v8, s[0:1], s8, v2
	v_addc_co_u32_e64 v9, s[0:1], v6, v3, s[0:1]
	v_mad_u64_u32 v[6:7], s[0:1], s2, v10, 0
	v_lshlrev_b64 v[2:3], 4, v[4:5]
	v_lshlrev_b64 v[0:1], 4, v[0:1]
	v_add_co_u32_e64 v4, s[0:1], v8, v2
	v_mov_b32_e32 v2, v7
	v_addc_co_u32_e64 v5, s[0:1], v9, v3, s[0:1]
	v_mad_u64_u32 v[2:3], s[0:1], s3, v10, v[2:3]
	v_mad_u64_u32 v[8:9], s[0:1], s2, v90, 0
	v_add_co_u32_e64 v10, s[0:1], v4, v0
	v_mov_b32_e32 v7, v2
	v_mov_b32_e32 v2, v9
	v_addc_co_u32_e64 v11, s[0:1], v5, v1, s[0:1]
	v_mad_u64_u32 v[2:3], s[0:1], s3, v90, v[2:3]
	v_add_u32_e32 v3, 0x333, v89
	v_lshlrev_b64 v[0:1], 4, v[6:7]
	v_mad_u64_u32 v[6:7], s[0:1], s2, v3, 0
	v_add_co_u32_e64 v12, s[0:1], v4, v0
	v_mov_b32_e32 v9, v2
	v_mov_b32_e32 v2, v7
	v_add_u32_e32 v91, 0x16c, v89
	v_addc_co_u32_e64 v13, s[0:1], v5, v1, s[0:1]
	v_lshlrev_b64 v[0:1], 4, v[8:9]
	v_mad_u64_u32 v[2:3], s[0:1], s3, v3, v[2:3]
	v_mad_u64_u32 v[8:9], s[0:1], s2, v91, 0
	v_add_co_u32_e64 v14, s[0:1], v4, v0
	v_mov_b32_e32 v7, v2
	v_mov_b32_e32 v2, v9
	v_addc_co_u32_e64 v15, s[0:1], v5, v1, s[0:1]
	v_mad_u64_u32 v[2:3], s[0:1], s3, v91, v[2:3]
	v_add_u32_e32 v3, 0x3e9, v89
	v_lshlrev_b64 v[0:1], 4, v[6:7]
	v_mad_u64_u32 v[6:7], s[0:1], s2, v3, 0
	v_add_co_u32_e64 v16, s[0:1], v4, v0
	v_mov_b32_e32 v9, v2
	v_mov_b32_e32 v2, v7
	v_addc_co_u32_e64 v17, s[0:1], v5, v1, s[0:1]
	v_mad_u64_u32 v[2:3], s[0:1], s3, v3, v[2:3]
	v_lshlrev_b64 v[0:1], 4, v[8:9]
	v_add_co_u32_e64 v8, s[0:1], v4, v0
	v_mov_b32_e32 v7, v2
	v_addc_co_u32_e64 v9, s[0:1], v5, v1, s[0:1]
	v_lshlrev_b64 v[0:1], 4, v[6:7]
	v_add_co_u32_e64 v6, s[0:1], v4, v0
	v_addc_co_u32_e64 v7, s[0:1], v5, v1, s[0:1]
	global_load_dwordx4 v[26:29], v[10:11], off
	global_load_dwordx4 v[0:3], v[12:13], off
	;; [unrolled: 1-line block ×6, first 2 shown]
	s_movk_i32 s0, 0x5b
	v_cmp_gt_u32_e64 s[0:1], s0, v89
	s_and_saveexec_b64 s[8:9], s[0:1]
	s_cbranch_execz .LBB0_14
; %bb.13:
	v_add_u32_e32 v10, 0x222, v89
	v_add_u32_e32 v12, 0x49f, v89
	v_mad_u64_u32 v[6:7], s[0:1], s2, v10, 0
	v_mad_u64_u32 v[8:9], s[0:1], s2, v12, 0
	;; [unrolled: 1-line block ×3, first 2 shown]
	v_mov_b32_e32 v7, v10
	v_mad_u64_u32 v[9:10], s[0:1], s3, v12, v[9:10]
	v_lshlrev_b64 v[6:7], 4, v[6:7]
	v_add_co_u32_e64 v6, s[0:1], v4, v6
	v_lshlrev_b64 v[8:9], 4, v[8:9]
	v_addc_co_u32_e64 v7, s[0:1], v5, v7, s[0:1]
	v_add_co_u32_e64 v4, s[0:1], v4, v8
	v_addc_co_u32_e64 v5, s[0:1], v5, v9, s[0:1]
	global_load_dwordx4 v[46:49], v[6:7], off
	global_load_dwordx4 v[50:53], v[4:5], off
.LBB0_14:
	s_or_b64 exec, exec, s[8:9]
	v_mov_b32_e32 v88, v89
.LBB0_15:
	s_or_b64 exec, exec, s[6:7]
	s_waitcnt vmcnt(4)
	v_add_f64 v[6:7], v[26:27], -v[0:1]
	s_waitcnt vmcnt(2)
	v_add_f64 v[10:11], v[34:35], -v[42:43]
	;; [unrolled: 2-line block ×3, first 2 shown]
	v_add_f64 v[14:15], v[46:47], -v[50:51]
	s_movk_i32 s0, 0x5b
	v_add_u32_e32 v0, 0x222, v89
	v_lshl_add_u32 v50, v89, 4, 0
	v_lshl_add_u32 v58, v90, 4, 0
	v_fma_f64 v[4:5], v[26:27], 2.0, -v[6:7]
	v_fma_f64 v[8:9], v[34:35], 2.0, -v[10:11]
	;; [unrolled: 1-line block ×4, first 2 shown]
	v_lshl_add_u32 v43, v91, 4, 0
	v_cmp_gt_u32_e64 s[2:3], s0, v89
	v_lshl_add_u32 v42, v0, 4, 0
	ds_write_b128 v50, v[4:7]
	ds_write_b128 v58, v[8:11]
	ds_write_b128 v43, v[16:19]
	s_and_saveexec_b64 s[0:1], s[2:3]
	s_cbranch_execz .LBB0_17
; %bb.16:
	ds_write_b128 v42, v[12:15]
.LBB0_17:
	s_or_b64 exec, exec, s[0:1]
	s_movk_i32 s0, 0x62
	v_cmp_gt_u32_e64 s[0:1], s0, v89
	v_lshlrev_b32_e32 v51, 3, v89
	s_waitcnt lgkmcnt(0)
	s_barrier
	s_waitcnt lgkmcnt(0)
                                        ; implicit-def: $vgpr60_vgpr61
                                        ; implicit-def: $vgpr22_vgpr23
                                        ; implicit-def: $vgpr26_vgpr27
	s_and_saveexec_b64 s[6:7], s[0:1]
	s_cbranch_execz .LBB0_19
; %bb.18:
	v_sub_u32_e32 v0, v50, v51
	v_add_u32_e32 v1, 0x400, v0
	ds_read2_b64 v[8:11], v1 offset0:68 offset1:166
	v_add_u32_e32 v1, 0x800, v0
	ds_read2_b64 v[16:19], v1 offset0:136 offset1:234
	;; [unrolled: 2-line block ×4, first 2 shown]
	v_add_u32_e32 v1, 0x1c00, v0
	ds_read2_b64 v[4:7], v0 offset1:98
	ds_read2_b64 v[20:23], v1 offset0:84 offset1:182
	ds_read_b64 v[60:61], v0 offset:9408
.LBB0_19:
	s_or_b64 exec, exec, s[6:7]
	v_add_f64 v[2:3], v[28:29], -v[2:3]
	v_add_f64 v[38:39], v[36:37], -v[44:45]
	;; [unrolled: 1-line block ×4, first 2 shown]
	s_waitcnt lgkmcnt(0)
	s_barrier
	v_fma_f64 v[0:1], v[28:29], 2.0, -v[2:3]
	v_fma_f64 v[36:37], v[36:37], 2.0, -v[38:39]
	;; [unrolled: 1-line block ×4, first 2 shown]
	ds_write_b128 v50, v[0:3]
	ds_write_b128 v58, v[36:39]
	;; [unrolled: 1-line block ×3, first 2 shown]
	s_and_saveexec_b64 s[6:7], s[2:3]
	s_cbranch_execz .LBB0_21
; %bb.20:
	ds_write_b128 v42, v[32:35]
.LBB0_21:
	s_or_b64 exec, exec, s[6:7]
	s_waitcnt lgkmcnt(0)
	s_barrier
	s_waitcnt lgkmcnt(0)
                                        ; implicit-def: $vgpr62_vgpr63
                                        ; implicit-def: $vgpr42_vgpr43
                                        ; implicit-def: $vgpr46_vgpr47
	s_and_saveexec_b64 s[2:3], s[0:1]
	s_cbranch_execz .LBB0_23
; %bb.22:
	v_sub_u32_e32 v48, v50, v51
	v_add_u32_e32 v28, 0x400, v48
	v_add_u32_e32 v40, 0x1800, v48
	ds_read2_b64 v[36:39], v28 offset0:68 offset1:166
	v_add_u32_e32 v28, 0x800, v48
	v_add_u32_e32 v32, 0x1000, v48
	ds_read2_b64 v[44:47], v40 offset0:16 offset1:114
	v_add_u32_e32 v40, 0x1c00, v48
	ds_read2_b64 v[0:3], v48 offset1:98
	ds_read2_b64 v[28:31], v28 offset0:136 offset1:234
	ds_read2_b64 v[32:35], v32 offset0:76 offset1:174
	;; [unrolled: 1-line block ×3, first 2 shown]
	ds_read_b64 v[62:63], v48 offset:9408
.LBB0_23:
	s_or_b64 exec, exec, s[2:3]
	v_and_b32_e32 v92, 1, v89
	v_mul_u32_u24_e32 v48, 12, v92
	v_lshlrev_b32_e32 v52, 4, v48
	global_load_dwordx4 v[48:51], v52, s[12:13] offset:16
	global_load_dwordx4 v[64:67], v52, s[12:13] offset:32
	;; [unrolled: 1-line block ×11, first 2 shown]
	global_load_dwordx4 v[109:112], v52, s[12:13]
	s_waitcnt vmcnt(0) lgkmcnt(0)
	s_barrier
	v_mul_f64 v[52:53], v[36:37], v[50:51]
	v_mul_f64 v[50:51], v[8:9], v[50:51]
	;; [unrolled: 1-line block ×11, first 2 shown]
	v_fma_f64 v[52:53], v[8:9], v[48:49], -v[52:53]
	v_fma_f64 v[58:59], v[36:37], v[48:49], v[50:51]
	v_mul_f64 v[8:9], v[14:15], v[82:83]
	v_mul_f64 v[82:83], v[44:45], v[86:87]
	v_fma_f64 v[50:51], v[10:11], v[64:65], -v[113:114]
	v_mul_f64 v[86:87], v[24:25], v[86:87]
	v_mul_f64 v[113:114], v[46:47], v[95:96]
	v_fma_f64 v[48:49], v[38:39], v[64:65], v[66:67]
	v_mul_f64 v[64:65], v[26:27], v[95:96]
	v_mul_f64 v[66:67], v[40:41], v[99:100]
	;; [unrolled: 1-line block ×4, first 2 shown]
	v_fma_f64 v[38:39], v[16:17], v[68:69], -v[115:116]
	v_fma_f64 v[36:37], v[28:29], v[68:69], v[70:71]
	v_mul_f64 v[68:69], v[22:23], v[103:104]
	v_mul_f64 v[70:71], v[62:63], v[107:108]
	v_fma_f64 v[28:29], v[18:19], v[72:73], -v[117:118]
	v_mul_f64 v[103:104], v[60:61], v[107:108]
	v_mul_f64 v[107:108], v[2:3], v[111:112]
	v_fma_f64 v[18:19], v[30:31], v[72:73], v[74:75]
	v_mul_f64 v[72:73], v[6:7], v[111:112]
	v_fma_f64 v[16:17], v[12:13], v[76:77], -v[119:120]
	v_fma_f64 v[10:11], v[32:33], v[76:77], v[78:79]
	v_fma_f64 v[14:15], v[14:15], v[80:81], -v[121:122]
	v_fma_f64 v[12:13], v[34:35], v[80:81], v[8:9]
	;; [unrolled: 2-line block ×8, first 2 shown]
	v_lshrrev_b32_e32 v93, 1, v89
	s_and_saveexec_b64 s[2:3], s[0:1]
	s_cbranch_execz .LBB0_25
; %bb.24:
	v_add_f64 v[74:75], v[60:61], -v[22:23]
	s_mov_b32 s6, 0x4bc48dbf
	s_mov_b32 s7, 0xbfcea1e5
	v_add_f64 v[76:77], v[58:59], -v[40:41]
	v_add_f64 v[80:81], v[46:47], v[42:43]
	s_mov_b32 s8, 0x93053d00
	s_mov_b32 s17, 0x3fddbe06
	;; [unrolled: 1-line block ×3, first 2 shown]
	v_mul_f64 v[2:3], v[74:75], s[6:7]
	s_mov_b32 s9, 0xbfef11f4
	v_add_f64 v[86:87], v[48:49], -v[20:21]
	v_add_f64 v[82:83], v[52:53], v[44:45]
	v_mul_f64 v[6:7], v[76:77], s[16:17]
	s_mov_b32 s18, 0x24c2f84
	s_mov_b32 s14, 0xe00740e9
	s_mov_b32 s19, 0xbfe5384d
	v_fma_f64 v[8:9], v[80:81], s[8:9], v[2:3]
	v_fma_f64 v[2:3], v[80:81], s[8:9], -v[2:3]
	s_mov_b32 s15, 0x3fec55a7
	v_add_f64 v[78:79], v[50:51], v[34:35]
	v_mul_f64 v[62:63], v[86:87], s[18:19]
	v_fma_f64 v[64:65], v[82:83], s[14:15], v[6:7]
	v_fma_f64 v[6:7], v[82:83], s[14:15], -v[6:7]
	v_add_f64 v[94:95], v[36:37], -v[26:27]
	v_add_f64 v[8:9], v[4:5], v[8:9]
	v_add_f64 v[2:3], v[4:5], v[2:3]
	s_mov_b32 s40, 0x42a4c3d2
	s_mov_b32 s22, 0xd0032e0c
	;; [unrolled: 1-line block ×4, first 2 shown]
	v_add_f64 v[72:73], v[38:39], v[32:33]
	s_mov_b32 s24, 0x1ea71119
	v_add_f64 v[8:9], v[64:65], v[8:9]
	v_fma_f64 v[64:65], v[78:79], s[22:23], v[62:63]
	v_add_f64 v[2:3], v[6:7], v[2:3]
	v_mul_f64 v[6:7], v[94:95], s[40:41]
	v_fma_f64 v[62:63], v[78:79], s[22:23], -v[62:63]
	s_mov_b32 s25, 0x3fe22d96
	v_add_f64 v[96:97], v[18:19], -v[24:25]
	s_mov_b32 s26, 0x2ef20147
	s_mov_b32 s27, 0xbfedeba7
	v_add_f64 v[8:9], v[64:65], v[8:9]
	v_add_f64 v[98:99], v[28:29], v[30:31]
	v_fma_f64 v[64:65], v[72:73], s[24:25], v[6:7]
	v_fma_f64 v[6:7], v[72:73], s[24:25], -v[6:7]
	v_add_f64 v[2:3], v[62:63], v[2:3]
	s_mov_b32 s28, 0xb2365da1
	s_mov_b32 s29, 0xbfd6b1d8
	v_add_f64 v[68:69], v[10:11], -v[12:13]
	s_mov_b32 s34, 0x66966769
	s_mov_b32 s35, 0x3fefc445
	v_add_f64 v[8:9], v[64:65], v[8:9]
	v_add_f64 v[66:67], v[16:17], v[14:15]
	;; [unrolled: 1-line block ×3, first 2 shown]
	v_mul_f64 v[6:7], v[96:97], s[26:27]
	s_mov_b32 s30, 0xebaa3ed8
	s_mov_b32 s31, 0x3fbedb7d
	v_mul_f64 v[64:65], v[76:77], s[34:35]
	s_mov_b32 s37, 0xbfea55e2
	s_mov_b32 s36, s40
	s_mov_b32 s45, 0x3fcea1e5
	s_mov_b32 s44, s6
	v_fma_f64 v[62:63], v[98:99], s[28:29], v[6:7]
	v_fma_f64 v[6:7], v[98:99], s[28:29], -v[6:7]
	s_mov_b32 s39, 0x3fe5384d
	v_fma_f64 v[70:71], v[82:83], s[30:31], v[64:65]
	v_fma_f64 v[64:65], v[82:83], s[30:31], -v[64:65]
	s_mov_b32 s38, s18
	s_mov_b32 s43, 0xbfefc445
	;; [unrolled: 1-line block ×3, first 2 shown]
	v_add_f64 v[8:9], v[62:63], v[8:9]
	v_mul_f64 v[62:63], v[68:69], s[34:35]
	v_add_f64 v[6:7], v[6:7], v[2:3]
	v_fma_f64 v[2:3], v[66:67], s[30:31], v[62:63]
	v_add_f64 v[2:3], v[2:3], v[8:9]
	v_fma_f64 v[8:9], v[66:67], s[30:31], -v[62:63]
	v_mul_f64 v[62:63], v[74:75], s[18:19]
	v_add_f64 v[6:7], v[8:9], v[6:7]
	v_fma_f64 v[8:9], v[80:81], s[22:23], v[62:63]
	v_fma_f64 v[62:63], v[80:81], s[22:23], -v[62:63]
	v_add_f64 v[8:9], v[4:5], v[8:9]
	v_add_f64 v[62:63], v[4:5], v[62:63]
	;; [unrolled: 1-line block ×3, first 2 shown]
	v_mul_f64 v[70:71], v[86:87], s[36:37]
	v_add_f64 v[62:63], v[64:65], v[62:63]
	v_fma_f64 v[84:85], v[78:79], s[24:25], v[70:71]
	v_fma_f64 v[64:65], v[78:79], s[24:25], -v[70:71]
	v_mul_f64 v[70:71], v[74:75], s[26:27]
	v_add_f64 v[8:9], v[84:85], v[8:9]
	v_mul_f64 v[84:85], v[94:95], s[44:45]
	v_add_f64 v[62:63], v[64:65], v[62:63]
	v_fma_f64 v[100:101], v[72:73], s[8:9], v[84:85]
	v_fma_f64 v[64:65], v[72:73], s[8:9], -v[84:85]
	v_mul_f64 v[84:85], v[76:77], s[38:39]
	v_add_f64 v[8:9], v[100:101], v[8:9]
	v_mul_f64 v[100:101], v[96:97], s[16:17]
	v_add_f64 v[62:63], v[64:65], v[62:63]
	v_fma_f64 v[102:103], v[98:99], s[14:15], v[100:101]
	v_fma_f64 v[64:65], v[98:99], s[14:15], -v[100:101]
	v_fma_f64 v[100:101], v[82:83], s[22:23], v[84:85]
	v_fma_f64 v[84:85], v[82:83], s[22:23], -v[84:85]
	v_add_f64 v[8:9], v[102:103], v[8:9]
	v_mul_f64 v[102:103], v[68:69], s[26:27]
	v_add_f64 v[62:63], v[64:65], v[62:63]
	v_fma_f64 v[64:65], v[66:67], s[28:29], -v[102:103]
	v_fma_f64 v[104:105], v[66:67], s[28:29], v[102:103]
	v_add_f64 v[62:63], v[64:65], v[62:63]
	v_fma_f64 v[64:65], v[80:81], s[28:29], v[70:71]
	v_fma_f64 v[70:71], v[80:81], s[28:29], -v[70:71]
	v_add_f64 v[8:9], v[104:105], v[8:9]
	v_add_f64 v[64:65], v[4:5], v[64:65]
	;; [unrolled: 1-line block ×4, first 2 shown]
	v_mul_f64 v[100:101], v[86:87], s[16:17]
	v_add_f64 v[70:71], v[84:85], v[70:71]
	v_fma_f64 v[102:103], v[78:79], s[14:15], v[100:101]
	v_fma_f64 v[84:85], v[78:79], s[14:15], -v[100:101]
	v_mul_f64 v[100:101], v[74:75], s[42:43]
	v_add_f64 v[64:65], v[102:103], v[64:65]
	v_mul_f64 v[102:103], v[94:95], s[42:43]
	v_add_f64 v[70:71], v[84:85], v[70:71]
	v_fma_f64 v[104:105], v[72:73], s[30:31], v[102:103]
	v_fma_f64 v[84:85], v[72:73], s[30:31], -v[102:103]
	v_mul_f64 v[102:103], v[76:77], s[6:7]
	v_add_f64 v[64:65], v[104:105], v[64:65]
	v_mul_f64 v[104:105], v[96:97], s[44:45]
	v_add_f64 v[70:71], v[84:85], v[70:71]
	v_fma_f64 v[106:107], v[98:99], s[8:9], v[104:105]
	v_fma_f64 v[84:85], v[98:99], s[8:9], -v[104:105]
	v_fma_f64 v[104:105], v[82:83], s[8:9], v[102:103]
	v_fma_f64 v[102:103], v[82:83], s[8:9], -v[102:103]
	v_add_f64 v[64:65], v[106:107], v[64:65]
	v_mul_f64 v[106:107], v[68:69], s[40:41]
	v_add_f64 v[70:71], v[84:85], v[70:71]
	s_mov_b32 s41, 0x3fedeba7
	s_mov_b32 s40, s26
	v_fma_f64 v[84:85], v[66:67], s[24:25], -v[106:107]
	v_fma_f64 v[108:109], v[66:67], s[24:25], v[106:107]
	v_add_f64 v[70:71], v[84:85], v[70:71]
	v_fma_f64 v[84:85], v[80:81], s[30:31], v[100:101]
	v_fma_f64 v[100:101], v[80:81], s[30:31], -v[100:101]
	v_add_f64 v[64:65], v[108:109], v[64:65]
	v_add_f64 v[84:85], v[4:5], v[84:85]
	;; [unrolled: 1-line block ×4, first 2 shown]
	v_mul_f64 v[104:105], v[86:87], s[40:41]
	v_add_f64 v[100:101], v[102:103], v[100:101]
	v_fma_f64 v[106:107], v[78:79], s[28:29], v[104:105]
	v_fma_f64 v[102:103], v[78:79], s[28:29], -v[104:105]
	v_add_f64 v[84:85], v[106:107], v[84:85]
	v_mul_f64 v[106:107], v[94:95], s[16:17]
	v_add_f64 v[100:101], v[102:103], v[100:101]
	v_fma_f64 v[108:109], v[72:73], s[14:15], v[106:107]
	v_fma_f64 v[102:103], v[72:73], s[14:15], -v[106:107]
	v_mul_f64 v[106:107], v[76:77], s[26:27]
	v_mul_f64 v[76:77], v[76:77], s[36:37]
	v_add_f64 v[84:85], v[108:109], v[84:85]
	v_mul_f64 v[108:109], v[96:97], s[36:37]
	v_add_f64 v[100:101], v[102:103], v[100:101]
	v_fma_f64 v[110:111], v[98:99], s[24:25], v[108:109]
	v_fma_f64 v[102:103], v[98:99], s[24:25], -v[108:109]
	v_fma_f64 v[108:109], v[82:83], s[28:29], v[106:107]
	v_fma_f64 v[106:107], v[82:83], s[28:29], -v[106:107]
	v_add_f64 v[84:85], v[110:111], v[84:85]
	v_mul_f64 v[110:111], v[68:69], s[18:19]
	v_add_f64 v[100:101], v[102:103], v[100:101]
	v_fma_f64 v[102:103], v[66:67], s[22:23], -v[110:111]
	v_fma_f64 v[112:113], v[66:67], s[22:23], v[110:111]
	v_add_f64 v[100:101], v[102:103], v[100:101]
	v_mul_f64 v[102:103], v[74:75], s[36:37]
	v_add_f64 v[84:85], v[112:113], v[84:85]
	v_fma_f64 v[104:105], v[80:81], s[24:25], v[102:103]
	v_fma_f64 v[102:103], v[80:81], s[24:25], -v[102:103]
	v_add_f64 v[104:105], v[4:5], v[104:105]
	v_add_f64 v[102:103], v[4:5], v[102:103]
	;; [unrolled: 1-line block ×3, first 2 shown]
	v_mul_f64 v[108:109], v[86:87], s[6:7]
	v_add_f64 v[102:103], v[106:107], v[102:103]
	v_mul_f64 v[86:87], v[86:87], s[42:43]
	v_fma_f64 v[110:111], v[78:79], s[8:9], v[108:109]
	v_fma_f64 v[106:107], v[78:79], s[8:9], -v[108:109]
	v_add_f64 v[104:105], v[110:111], v[104:105]
	v_mul_f64 v[110:111], v[94:95], s[38:39]
	v_add_f64 v[102:103], v[106:107], v[102:103]
	v_fma_f64 v[112:113], v[72:73], s[22:23], v[110:111]
	v_fma_f64 v[106:107], v[72:73], s[22:23], -v[110:111]
	v_add_f64 v[104:105], v[112:113], v[104:105]
	v_mul_f64 v[112:113], v[96:97], s[34:35]
	v_add_f64 v[102:103], v[106:107], v[102:103]
	v_fma_f64 v[106:107], v[98:99], s[30:31], -v[112:113]
	v_fma_f64 v[114:115], v[98:99], s[30:31], v[112:113]
	v_add_f64 v[102:103], v[106:107], v[102:103]
	v_mul_f64 v[106:107], v[68:69], s[16:17]
	s_mov_b32 s17, 0xbfddbe06
	v_mul_f64 v[74:75], v[74:75], s[16:17]
	v_mul_f64 v[68:69], v[68:69], s[6:7]
	v_add_f64 v[104:105], v[114:115], v[104:105]
	v_fma_f64 v[108:109], v[66:67], s[14:15], -v[106:107]
	v_add_f64 v[102:103], v[108:109], v[102:103]
	v_fma_f64 v[108:109], v[78:79], s[30:31], v[86:87]
	v_fma_f64 v[78:79], v[78:79], s[30:31], -v[86:87]
	v_fma_f64 v[86:87], v[80:81], s[14:15], v[74:75]
	v_fma_f64 v[74:75], v[80:81], s[14:15], -v[74:75]
	;; [unrolled: 2-line block ×3, first 2 shown]
	v_add_f64 v[74:75], v[4:5], v[74:75]
	v_add_f64 v[74:75], v[76:77], v[74:75]
	;; [unrolled: 1-line block ×5, first 2 shown]
	v_mul_f64 v[78:79], v[94:95], s[26:27]
	v_add_f64 v[4:5], v[4:5], v[52:53]
	v_add_f64 v[76:77], v[80:81], v[76:77]
	v_fma_f64 v[80:81], v[72:73], s[28:29], -v[78:79]
	v_add_f64 v[4:5], v[4:5], v[50:51]
	v_fma_f64 v[72:73], v[72:73], s[28:29], v[78:79]
	v_mul_f64 v[78:79], v[96:97], s[18:19]
	v_add_f64 v[76:77], v[108:109], v[76:77]
	v_add_f64 v[74:75], v[80:81], v[74:75]
	;; [unrolled: 1-line block ×3, first 2 shown]
	v_fma_f64 v[80:81], v[98:99], s[22:23], -v[78:79]
	v_fma_f64 v[78:79], v[98:99], s[22:23], v[78:79]
	v_add_f64 v[72:73], v[72:73], v[76:77]
	v_fma_f64 v[76:77], v[66:67], s[14:15], v[106:107]
	v_add_f64 v[4:5], v[4:5], v[28:29]
	v_add_f64 v[74:75], v[80:81], v[74:75]
	v_fma_f64 v[80:81], v[66:67], s[8:9], -v[68:69]
	v_fma_f64 v[66:67], v[66:67], s[8:9], v[68:69]
	v_add_f64 v[68:69], v[78:79], v[72:73]
	v_add_f64 v[4:5], v[4:5], v[16:17]
	;; [unrolled: 1-line block ×5, first 2 shown]
	v_mul_u32_u24_e32 v68, 26, v93
	v_or_b32_e32 v68, v68, v92
	v_add_f64 v[4:5], v[4:5], v[14:15]
	v_lshl_add_u32 v68, v68, 3, 0
	v_add_f64 v[4:5], v[4:5], v[30:31]
	v_add_f64 v[4:5], v[4:5], v[32:33]
	;; [unrolled: 1-line block ×5, first 2 shown]
	ds_write2_b64 v68, v[4:5], v[72:73] offset1:2
	ds_write2_b64 v68, v[102:103], v[100:101] offset0:4 offset1:6
	ds_write2_b64 v68, v[70:71], v[62:63] offset0:8 offset1:10
	;; [unrolled: 1-line block ×5, first 2 shown]
	ds_write_b64 v68, v[66:67] offset:192
.LBB0_25:
	s_or_b64 exec, exec, s[2:3]
	v_lshl_add_u32 v68, v89, 3, 0
	s_waitcnt lgkmcnt(0)
	s_barrier
	v_lshl_add_u32 v69, v90, 3, 0
	v_lshl_add_u32 v70, v91, 3, 0
	ds_read_b64 v[62:63], v68
	ds_read_b64 v[66:67], v69
	;; [unrolled: 1-line block ×3, first 2 shown]
	v_add_u32_e32 v71, 0x1000, v68
	v_add_u32_e32 v72, 0x1c00, v68
	ds_read2_b64 v[2:5], v71 offset0:34 offset1:216
	ds_read2_b64 v[6:9], v72 offset0:14 offset1:196
	s_waitcnt lgkmcnt(0)
	s_barrier
	s_and_saveexec_b64 s[2:3], s[0:1]
	s_cbranch_execz .LBB0_27
; %bb.26:
	v_add_f64 v[73:74], v[0:1], v[60:61]
	v_add_f64 v[42:43], v[46:47], -v[42:43]
	s_mov_b32 s26, 0x42a4c3d2
	s_mov_b32 s27, 0xbfea55e2
	v_add_f64 v[60:61], v[60:61], v[22:23]
	v_add_f64 v[44:45], v[52:53], -v[44:45]
	s_mov_b32 s0, 0x1ea71119
	s_mov_b32 s36, 0x66966769
	v_add_f64 v[46:47], v[73:74], v[58:59]
	v_mul_f64 v[73:74], v[42:43], s[26:27]
	s_mov_b32 s18, 0x2ef20147
	s_mov_b32 s1, 0x3fe22d96
	s_mov_b32 s37, 0xbfefc445
	s_mov_b32 s19, 0xbfedeba7
	v_add_f64 v[58:59], v[58:59], v[40:41]
	v_mul_f64 v[75:76], v[42:43], s[36:37]
	v_add_f64 v[46:47], v[46:47], v[48:49]
	v_mul_f64 v[77:78], v[42:43], s[18:19]
	v_mul_f64 v[83:84], v[44:45], s[18:19]
	v_fma_f64 v[98:99], v[60:61], s[0:1], v[73:74]
	v_fma_f64 v[73:74], v[60:61], s[0:1], -v[73:74]
	s_mov_b32 s8, 0xebaa3ed8
	s_mov_b32 s16, 0xb2365da1
	;; [unrolled: 1-line block ×3, first 2 shown]
	v_add_f64 v[46:47], v[46:47], v[36:37]
	s_mov_b32 s30, 0x4bc48dbf
	s_mov_b32 s15, 0xbfddbe06
	;; [unrolled: 1-line block ×7, first 2 shown]
	v_add_f64 v[46:47], v[46:47], v[18:19]
	s_mov_b32 s39, 0x3fe5384d
	s_mov_b32 s38, s24
	v_mul_f64 v[52:53], v[42:43], s[14:15]
	v_mul_f64 v[79:80], v[42:43], s[24:25]
	;; [unrolled: 1-line block ×5, first 2 shown]
	v_add_f64 v[46:47], v[46:47], v[10:11]
	v_fma_f64 v[100:101], v[60:61], s[8:9], v[75:76]
	v_fma_f64 v[75:76], v[60:61], s[8:9], -v[75:76]
	v_fma_f64 v[102:103], v[60:61], s[16:17], v[77:78]
	v_fma_f64 v[77:78], v[60:61], s[16:17], -v[77:78]
	;; [unrolled: 2-line block ×3, first 2 shown]
	v_add_f64 v[73:74], v[0:1], v[73:74]
	v_add_f64 v[46:47], v[46:47], v[12:13]
	s_mov_b32 s6, 0xe00740e9
	s_mov_b32 s22, 0xd0032e0c
	;; [unrolled: 1-line block ×7, first 2 shown]
	v_add_f64 v[46:47], v[46:47], v[24:25]
	s_mov_b32 s34, s36
	s_mov_b32 s15, 0x3fddbe06
	v_mul_f64 v[81:82], v[44:45], s[26:27]
	v_mul_f64 v[94:95], v[44:45], s[34:35]
	v_fma_f64 v[96:97], v[60:61], s[6:7], v[52:53]
	v_fma_f64 v[52:53], v[60:61], s[6:7], -v[52:53]
	v_fma_f64 v[104:105], v[60:61], s[22:23], v[79:80]
	v_add_f64 v[46:47], v[46:47], v[26:27]
	v_fma_f64 v[79:80], v[60:61], s[22:23], -v[79:80]
	v_fma_f64 v[106:107], v[60:61], s[28:29], v[42:43]
	v_fma_f64 v[42:43], v[60:61], s[28:29], -v[42:43]
	v_add_f64 v[75:76], v[0:1], v[75:76]
	v_add_f64 v[77:78], v[0:1], v[77:78]
	;; [unrolled: 1-line block ×3, first 2 shown]
	v_add_f64 v[34:35], v[50:51], -v[34:35]
	v_add_f64 v[46:47], v[46:47], v[20:21]
	v_fma_f64 v[83:84], v[58:59], s[22:23], -v[90:91]
	v_mul_f64 v[44:45], v[44:45], s[14:15]
	v_fma_f64 v[60:61], v[58:59], s[0:1], v[81:82]
	v_fma_f64 v[81:82], v[58:59], s[0:1], -v[81:82]
	v_add_f64 v[96:97], v[0:1], v[96:97]
	v_add_f64 v[52:53], v[0:1], v[52:53]
	;; [unrolled: 1-line block ×10, first 2 shown]
	v_fma_f64 v[50:51], v[58:59], s[22:23], v[90:91]
	v_add_f64 v[22:23], v[40:41], v[22:23]
	v_fma_f64 v[40:41], v[58:59], s[28:29], -v[85:86]
	v_fma_f64 v[90:91], v[58:59], s[8:9], -v[94:95]
	v_add_f64 v[20:21], v[48:49], v[20:21]
	v_mul_f64 v[48:49], v[34:35], s[36:37]
	s_mov_b32 s41, 0x3fedeba7
	s_mov_b32 s40, s18
	v_fma_f64 v[110:111], v[58:59], s[28:29], v[85:86]
	v_add_f64 v[42:43], v[60:61], v[96:97]
	v_add_f64 v[40:41], v[40:41], v[75:76]
	;; [unrolled: 1-line block ×3, first 2 shown]
	v_fma_f64 v[83:84], v[58:59], s[6:7], v[44:45]
	v_fma_f64 v[44:45], v[58:59], s[6:7], -v[44:45]
	v_add_f64 v[52:53], v[81:82], v[52:53]
	v_fma_f64 v[85:86], v[58:59], s[8:9], v[94:95]
	v_add_f64 v[79:80], v[90:91], v[79:80]
	v_fma_f64 v[58:59], v[20:21], s[8:9], v[48:49]
	v_fma_f64 v[48:49], v[20:21], s[8:9], -v[48:49]
	v_mul_f64 v[90:91], v[34:35], s[40:41]
	v_add_f64 v[32:33], v[38:39], -v[32:33]
	v_add_f64 v[0:1], v[44:45], v[0:1]
	v_mul_f64 v[44:45], v[34:35], s[14:15]
	v_add_f64 v[81:82], v[110:111], v[100:101]
	v_add_f64 v[77:78], v[85:86], v[104:105]
	v_mul_f64 v[85:86], v[34:35], s[30:31]
	v_add_f64 v[42:43], v[58:59], v[42:43]
	v_add_f64 v[48:49], v[48:49], v[52:53]
	v_fma_f64 v[52:53], v[20:21], s[16:17], v[90:91]
	v_fma_f64 v[58:59], v[20:21], s[16:17], -v[90:91]
	v_mul_f64 v[90:91], v[34:35], s[26:27]
	v_fma_f64 v[38:39], v[20:21], s[6:7], -v[44:45]
	v_mul_f64 v[34:35], v[34:35], s[24:25]
	v_add_f64 v[26:27], v[36:37], v[26:27]
	v_mul_f64 v[36:37], v[32:33], s[18:19]
	v_add_f64 v[60:61], v[108:109], v[98:99]
	v_add_f64 v[46:47], v[83:84], v[46:47]
	v_fma_f64 v[83:84], v[20:21], s[28:29], v[85:86]
	v_fma_f64 v[85:86], v[20:21], s[28:29], -v[85:86]
	v_fma_f64 v[94:95], v[20:21], s[6:7], v[44:45]
	v_add_f64 v[44:45], v[52:53], v[81:82]
	v_add_f64 v[40:41], v[58:59], v[40:41]
	v_fma_f64 v[52:53], v[20:21], s[0:1], v[90:91]
	v_add_f64 v[38:39], v[38:39], v[75:76]
	v_fma_f64 v[58:59], v[20:21], s[0:1], -v[90:91]
	v_mul_f64 v[75:76], v[32:33], s[38:39]
	v_fma_f64 v[81:82], v[20:21], s[22:23], v[34:35]
	v_fma_f64 v[20:21], v[20:21], s[22:23], -v[34:35]
	v_fma_f64 v[34:35], v[26:27], s[16:17], v[36:37]
	v_fma_f64 v[36:37], v[26:27], s[16:17], -v[36:37]
	v_add_f64 v[60:61], v[83:84], v[60:61]
	v_add_f64 v[73:74], v[85:86], v[73:74]
	;; [unrolled: 1-line block ×3, first 2 shown]
	v_mul_f64 v[77:78], v[32:33], s[14:15]
	v_add_f64 v[58:59], v[58:59], v[79:80]
	v_fma_f64 v[79:80], v[26:27], s[22:23], v[75:76]
	v_fma_f64 v[75:76], v[26:27], s[22:23], -v[75:76]
	v_add_f64 v[0:1], v[20:21], v[0:1]
	v_add_f64 v[20:21], v[34:35], v[42:43]
	;; [unrolled: 1-line block ×3, first 2 shown]
	v_mul_f64 v[36:37], v[32:33], s[36:37]
	s_mov_b32 s37, 0x3fcea1e5
	s_mov_b32 s36, s30
	v_add_f64 v[42:43], v[79:80], v[60:61]
	v_add_f64 v[48:49], v[75:76], v[73:74]
	v_fma_f64 v[60:61], v[26:27], s[6:7], -v[77:78]
	v_mul_f64 v[73:74], v[32:33], s[36:37]
	v_add_f64 v[28:29], v[28:29], -v[30:31]
	s_mov_b32 s39, 0x3fea55e2
	s_mov_b32 s38, s26
	v_fma_f64 v[30:31], v[26:27], s[8:9], -v[36:37]
	v_mul_f64 v[32:33], v[32:33], s[38:39]
	v_fma_f64 v[75:76], v[26:27], s[8:9], v[36:37]
	v_add_f64 v[36:37], v[60:61], v[40:41]
	v_fma_f64 v[40:41], v[26:27], s[28:29], v[73:74]
	v_add_f64 v[18:19], v[18:19], v[24:25]
	v_mul_f64 v[24:25], v[28:29], s[24:25]
	v_add_f64 v[46:47], v[81:82], v[46:47]
	v_fma_f64 v[60:61], v[26:27], s[28:29], -v[73:74]
	v_add_f64 v[30:31], v[30:31], v[38:39]
	v_fma_f64 v[38:39], v[26:27], s[0:1], v[32:33]
	v_mul_f64 v[73:74], v[28:29], s[34:35]
	v_fma_f64 v[83:84], v[26:27], s[6:7], v[77:78]
	v_fma_f64 v[26:27], v[26:27], s[0:1], -v[32:33]
	v_add_f64 v[32:33], v[40:41], v[52:53]
	v_fma_f64 v[40:41], v[18:19], s[22:23], v[24:25]
	v_mul_f64 v[52:53], v[28:29], s[26:27]
	v_fma_f64 v[24:25], v[18:19], s[22:23], -v[24:25]
	v_add_f64 v[38:39], v[38:39], v[46:47]
	v_fma_f64 v[46:47], v[18:19], s[8:9], v[73:74]
	v_add_f64 v[58:59], v[60:61], v[58:59]
	v_mul_f64 v[60:61], v[28:29], s[36:37]
	v_add_f64 v[14:15], v[16:17], -v[14:15]
	v_add_f64 v[44:45], v[83:84], v[44:45]
	v_add_f64 v[0:1], v[26:27], v[0:1]
	;; [unrolled: 1-line block ×3, first 2 shown]
	v_fma_f64 v[34:35], v[18:19], s[0:1], -v[52:53]
	v_fma_f64 v[26:27], v[18:19], s[8:9], -v[73:74]
	v_add_f64 v[20:21], v[40:41], v[20:21]
	v_fma_f64 v[40:41], v[18:19], s[0:1], v[52:53]
	v_add_f64 v[42:43], v[46:47], v[42:43]
	v_mul_f64 v[46:47], v[28:29], s[14:15]
	v_mul_f64 v[28:29], v[28:29], s[18:19]
	v_add_f64 v[50:51], v[50:51], v[102:103]
	v_add_f64 v[34:35], v[34:35], v[36:37]
	v_fma_f64 v[36:37], v[18:19], s[28:29], -v[60:61]
	v_add_f64 v[10:11], v[10:11], v[12:13]
	v_mul_f64 v[12:13], v[14:15], s[30:31]
	v_add_f64 v[26:27], v[26:27], v[48:49]
	v_add_f64 v[16:17], v[40:41], v[44:45]
	v_fma_f64 v[40:41], v[18:19], s[28:29], v[60:61]
	v_fma_f64 v[44:45], v[18:19], s[6:7], v[46:47]
	v_fma_f64 v[46:47], v[18:19], s[6:7], -v[46:47]
	v_fma_f64 v[48:49], v[18:19], s[16:17], v[28:29]
	v_fma_f64 v[18:19], v[18:19], s[16:17], -v[28:29]
	v_mul_f64 v[28:29], v[14:15], s[14:15]
	v_add_f64 v[50:51], v[94:95], v[50:51]
	v_add_f64 v[30:31], v[36:37], v[30:31]
	v_fma_f64 v[36:37], v[10:11], s[28:29], v[12:13]
	v_fma_f64 v[12:13], v[10:11], s[28:29], -v[12:13]
	v_add_f64 v[32:33], v[44:45], v[32:33]
	v_add_f64 v[44:45], v[46:47], v[58:59]
	;; [unrolled: 1-line block ×3, first 2 shown]
	v_fma_f64 v[18:19], v[10:11], s[6:7], v[28:29]
	v_fma_f64 v[28:29], v[10:11], s[6:7], -v[28:29]
	v_mul_f64 v[46:47], v[14:15], s[24:25]
	v_add_f64 v[50:51], v[75:76], v[50:51]
	v_add_f64 v[20:21], v[36:37], v[20:21]
	v_mul_f64 v[36:37], v[14:15], s[38:39]
	v_add_f64 v[12:13], v[12:13], v[24:25]
	v_mul_f64 v[24:25], v[14:15], s[18:19]
	v_mul_f64 v[14:15], v[14:15], s[34:35]
	v_add_f64 v[26:27], v[28:29], v[26:27]
	v_fma_f64 v[28:29], v[10:11], s[22:23], v[46:47]
	v_add_f64 v[40:41], v[40:41], v[50:51]
	v_add_f64 v[38:39], v[48:49], v[38:39]
	;; [unrolled: 1-line block ×3, first 2 shown]
	v_fma_f64 v[42:43], v[10:11], s[22:23], -v[46:47]
	v_fma_f64 v[46:47], v[10:11], s[0:1], v[36:37]
	v_fma_f64 v[48:49], v[10:11], s[16:17], v[24:25]
	;; [unrolled: 1-line block ×3, first 2 shown]
	v_fma_f64 v[14:15], v[10:11], s[8:9], -v[14:15]
	v_fma_f64 v[36:37], v[10:11], s[0:1], -v[36:37]
	;; [unrolled: 1-line block ×3, first 2 shown]
	v_add_f64 v[16:17], v[28:29], v[16:17]
	v_add_f64 v[24:25], v[42:43], v[34:35]
	;; [unrolled: 1-line block ×8, first 2 shown]
	v_mul_u32_u24_e32 v14, 26, v93
	v_or_b32_e32 v14, v14, v92
	v_lshl_add_u32 v14, v14, 3, 0
	ds_write2_b64 v14, v[22:23], v[20:21] offset1:2
	ds_write2_b64 v14, v[18:19], v[16:17] offset0:4 offset1:6
	ds_write2_b64 v14, v[28:29], v[32:33] offset0:8 offset1:10
	;; [unrolled: 1-line block ×5, first 2 shown]
	ds_write_b64 v14, v[12:13] offset:192
.LBB0_27:
	s_or_b64 exec, exec, s[2:3]
	s_movk_i32 s0, 0x4f
	v_mul_lo_u16_sdwa v0, v89, s0 dst_sel:DWORD dst_unused:UNUSED_PAD src0_sel:BYTE_0 src1_sel:DWORD
	v_lshrrev_b16_e32 v46, 11, v0
	v_mul_lo_u16_e32 v0, 26, v46
	v_sub_u16_e32 v47, v89, v0
	v_mov_b32_e32 v0, 6
	v_mul_u32_u24_sdwa v0, v47, v0 dst_sel:DWORD dst_unused:UNUSED_PAD src0_sel:BYTE_0 src1_sel:DWORD
	v_lshlrev_b32_e32 v0, 4, v0
	s_waitcnt lgkmcnt(0)
	s_barrier
	global_load_dwordx4 v[10:13], v0, s[12:13] offset:384
	global_load_dwordx4 v[14:17], v0, s[12:13] offset:400
	global_load_dwordx4 v[18:21], v0, s[12:13] offset:416
	global_load_dwordx4 v[22:25], v0, s[12:13] offset:432
	global_load_dwordx4 v[26:29], v0, s[12:13] offset:464
	global_load_dwordx4 v[30:33], v0, s[12:13] offset:448
	ds_read_b64 v[0:1], v68
	ds_read_b64 v[42:43], v69
	;; [unrolled: 1-line block ×3, first 2 shown]
	ds_read2_b64 v[34:37], v71 offset0:34 offset1:216
	ds_read2_b64 v[38:41], v72 offset0:14 offset1:196
	v_mov_b32_e32 v48, 3
	v_mul_u32_u24_e32 v46, 0x5b0, v46
	v_lshlrev_b32_sdwa v47, v48, v47 dst_sel:DWORD dst_unused:UNUSED_PAD src0_sel:DWORD src1_sel:BYTE_0
	v_add3_u32 v73, 0, v46, v47
	s_mov_b32 s2, 0x37e14327
	s_mov_b32 s0, 0x36b3c0b5
	;; [unrolled: 1-line block ×20, first 2 shown]
	s_waitcnt vmcnt(0) lgkmcnt(0)
	s_barrier
	v_mul_f64 v[46:47], v[42:43], v[12:13]
	v_mul_f64 v[12:13], v[66:67], v[12:13]
	;; [unrolled: 1-line block ×12, first 2 shown]
	v_fma_f64 v[46:47], v[66:67], v[10:11], -v[46:47]
	v_fma_f64 v[10:11], v[42:43], v[10:11], v[12:13]
	v_fma_f64 v[12:13], v[64:65], v[14:15], -v[48:49]
	v_fma_f64 v[14:15], v[44:45], v[14:15], v[16:17]
	;; [unrolled: 2-line block ×3, first 2 shown]
	v_fma_f64 v[6:7], v[6:7], v[30:31], -v[60:61]
	v_fma_f64 v[2:3], v[2:3], v[18:19], -v[50:51]
	v_fma_f64 v[18:19], v[34:35], v[18:19], v[20:21]
	v_fma_f64 v[20:21], v[38:39], v[30:31], v[32:33]
	v_fma_f64 v[4:5], v[4:5], v[22:23], -v[52:53]
	v_fma_f64 v[22:23], v[36:37], v[22:23], v[24:25]
	v_add_f64 v[24:25], v[46:47], v[8:9]
	v_add_f64 v[26:27], v[10:11], v[16:17]
	v_add_f64 v[10:11], v[10:11], -v[16:17]
	v_add_f64 v[16:17], v[12:13], v[6:7]
	v_add_f64 v[6:7], v[12:13], -v[6:7]
	v_add_f64 v[28:29], v[14:15], v[20:21]
	v_add_f64 v[12:13], v[14:15], -v[20:21]
	v_add_f64 v[14:15], v[2:3], v[4:5]
	v_add_f64 v[20:21], v[18:19], v[22:23]
	v_add_f64 v[2:3], v[4:5], -v[2:3]
	v_add_f64 v[4:5], v[22:23], -v[18:19]
	v_add_f64 v[18:19], v[16:17], v[24:25]
	v_add_f64 v[8:9], v[46:47], -v[8:9]
	v_add_f64 v[22:23], v[28:29], v[26:27]
	v_add_f64 v[30:31], v[16:17], -v[24:25]
	v_add_f64 v[24:25], v[24:25], -v[14:15]
	;; [unrolled: 1-line block ×4, first 2 shown]
	v_add_f64 v[36:37], v[4:5], v[12:13]
	v_add_f64 v[40:41], v[4:5], -v[12:13]
	v_add_f64 v[14:15], v[14:15], v[18:19]
	v_add_f64 v[26:27], v[26:27], -v[20:21]
	v_add_f64 v[12:13], v[12:13], -v[10:11]
	v_add_f64 v[18:19], v[20:21], v[22:23]
	v_add_f64 v[28:29], v[20:21], -v[28:29]
	v_add_f64 v[34:35], v[2:3], v[6:7]
	v_add_f64 v[38:39], v[2:3], -v[6:7]
	v_add_f64 v[4:5], v[10:11], -v[4:5]
	;; [unrolled: 1-line block ×3, first 2 shown]
	v_add_f64 v[10:11], v[36:37], v[10:11]
	v_mul_f64 v[20:21], v[24:25], s[2:3]
	v_mul_f64 v[24:25], v[16:17], s[0:1]
	v_mul_f64 v[36:37], v[40:41], s[14:15]
	v_add_f64 v[42:43], v[62:63], v[14:15]
	v_mul_f64 v[22:23], v[26:27], s[2:3]
	v_mul_f64 v[40:41], v[12:13], s[6:7]
	v_add_f64 v[44:45], v[0:1], v[18:19]
	v_add_f64 v[2:3], v[8:9], -v[2:3]
	v_add_f64 v[8:9], v[34:35], v[8:9]
	v_mul_f64 v[26:27], v[28:29], s[0:1]
	v_mul_f64 v[34:35], v[38:39], s[14:15]
	;; [unrolled: 1-line block ×3, first 2 shown]
	v_fma_f64 v[0:1], v[16:17], s[0:1], v[20:21]
	v_fma_f64 v[24:25], v[30:31], s[16:17], -v[24:25]
	v_fma_f64 v[20:21], v[30:31], s[18:19], -v[20:21]
	v_fma_f64 v[30:31], v[4:5], s[22:23], v[36:37]
	v_fma_f64 v[14:15], v[14:15], s[8:9], v[42:43]
	;; [unrolled: 1-line block ×3, first 2 shown]
	v_fma_f64 v[12:13], v[12:13], s[6:7], -v[36:37]
	v_fma_f64 v[4:5], v[4:5], s[26:27], -v[40:41]
	v_fma_f64 v[18:19], v[18:19], s[8:9], v[44:45]
	v_fma_f64 v[26:27], v[32:33], s[16:17], -v[26:27]
	v_fma_f64 v[22:23], v[32:33], s[18:19], -v[22:23]
	v_fma_f64 v[28:29], v[2:3], s[22:23], v[34:35]
	;; [unrolled: 3-line block ×3, first 2 shown]
	v_add_f64 v[0:1], v[0:1], v[14:15]
	v_fma_f64 v[12:13], v[10:11], s[24:25], v[12:13]
	v_fma_f64 v[4:5], v[10:11], s[24:25], v[4:5]
	v_add_f64 v[10:11], v[16:17], v[18:19]
	v_add_f64 v[16:17], v[20:21], v[14:15]
	;; [unrolled: 1-line block ×3, first 2 shown]
	v_fma_f64 v[28:29], v[8:9], s[24:25], v[28:29]
	v_fma_f64 v[2:3], v[8:9], s[24:25], v[2:3]
	v_add_f64 v[20:21], v[22:23], v[18:19]
	v_fma_f64 v[6:7], v[8:9], s[24:25], v[6:7]
	v_add_f64 v[8:9], v[26:27], v[18:19]
	v_add_f64 v[18:19], v[30:31], v[0:1]
	;; [unrolled: 1-line block ×3, first 2 shown]
	v_add_f64 v[32:33], v[14:15], -v[12:13]
	v_add_f64 v[12:13], v[12:13], v[14:15]
	v_add_f64 v[4:5], v[16:17], -v[4:5]
	v_add_f64 v[0:1], v[0:1], -v[30:31]
	;; [unrolled: 1-line block ×4, first 2 shown]
	v_add_f64 v[14:15], v[6:7], v[8:9]
	v_add_f64 v[16:17], v[8:9], -v[6:7]
	v_add_f64 v[20:21], v[2:3], v[20:21]
	v_add_f64 v[28:29], v[28:29], v[10:11]
	ds_write2_b64 v73, v[42:43], v[18:19] offset1:26
	ds_write2_b64 v73, v[24:25], v[32:33] offset0:52 offset1:78
	ds_write2_b64 v73, v[12:13], v[4:5] offset0:104 offset1:130
	ds_write_b64 v73, v[0:1] offset:1248
	s_waitcnt lgkmcnt(0)
	s_barrier
	ds_read_b64 v[8:9], v68
	ds_read_b64 v[10:11], v69
	;; [unrolled: 1-line block ×3, first 2 shown]
	ds_read2_b64 v[4:7], v71 offset0:34 offset1:216
	ds_read2_b64 v[0:3], v72 offset0:14 offset1:196
	s_waitcnt lgkmcnt(0)
	s_barrier
	ds_write2_b64 v73, v[44:45], v[22:23] offset1:26
	ds_write2_b64 v73, v[26:27], v[14:15] offset0:52 offset1:78
	ds_write2_b64 v73, v[16:17], v[20:21] offset0:104 offset1:130
	ds_write_b64 v73, v[28:29] offset:1248
	s_waitcnt lgkmcnt(0)
	s_barrier
	s_and_saveexec_b64 s[28:29], vcc
	s_cbranch_execz .LBB0_29
; %bb.28:
	v_mul_u32_u24_e32 v14, 6, v89
	v_lshlrev_b32_e32 v38, 4, v14
	global_load_dwordx4 v[14:17], v38, s[12:13] offset:2928
	global_load_dwordx4 v[18:21], v38, s[12:13] offset:2912
	;; [unrolled: 1-line block ×6, first 2 shown]
	v_mul_lo_u32 v60, s5, v56
	v_mul_lo_u32 v61, s4, v57
	v_mad_u64_u32 v[46:47], s[4:5], s4, v56, 0
	v_add_u32_e32 v38, 0x1000, v68
	v_add_u32_e32 v42, 0x1c00, v68
	;; [unrolled: 1-line block ×3, first 2 shown]
	ds_read_b64 v[48:49], v70
	ds_read_b64 v[50:51], v69
	;; [unrolled: 1-line block ×3, first 2 shown]
	v_mad_u64_u32 v[56:57], s[4:5], s20, v88, 0
	ds_read2_b64 v[38:41], v38 offset0:34 offset1:216
	ds_read2_b64 v[42:45], v42 offset0:14 offset1:196
	v_mad_u64_u32 v[58:59], s[4:5], s20, v71, 0
	v_add3_u32 v47, v47, v61, v60
	v_lshlrev_b64 v[46:47], 4, v[46:47]
	v_mov_b32_e32 v62, s11
	v_mad_u64_u32 v[60:61], s[4:5], s21, v88, v[57:58]
	v_add_co_u32_e32 v57, vcc, s10, v46
	v_addc_co_u32_e32 v72, vcc, v62, v47, vcc
	v_lshlrev_b64 v[54:55], 4, v[54:55]
	s_waitcnt vmcnt(5) lgkmcnt(1)
	v_mul_f64 v[46:47], v[40:41], v[16:17]
	s_waitcnt vmcnt(4)
	v_mul_f64 v[61:62], v[38:39], v[20:21]
	s_waitcnt vmcnt(3)
	v_mul_f64 v[63:64], v[48:49], v[24:25]
	s_waitcnt vmcnt(2) lgkmcnt(0)
	v_mul_f64 v[65:66], v[42:43], v[28:29]
	s_waitcnt vmcnt(1)
	v_mul_f64 v[67:68], v[50:51], v[32:33]
	s_waitcnt vmcnt(0)
	v_mul_f64 v[69:70], v[44:45], v[36:37]
	v_mul_f64 v[20:21], v[4:5], v[20:21]
	;; [unrolled: 1-line block ×7, first 2 shown]
	v_fma_f64 v[6:7], v[6:7], v[14:15], -v[46:47]
	v_fma_f64 v[4:5], v[4:5], v[18:19], -v[61:62]
	;; [unrolled: 1-line block ×6, first 2 shown]
	v_fma_f64 v[18:19], v[18:19], v[38:39], v[20:21]
	v_fma_f64 v[14:15], v[14:15], v[40:41], v[16:17]
	;; [unrolled: 1-line block ×6, first 2 shown]
	v_add_f64 v[28:29], v[12:13], -v[0:1]
	v_add_f64 v[30:31], v[10:11], -v[2:3]
	v_add_f64 v[0:1], v[12:13], v[0:1]
	v_add_f64 v[2:3], v[10:11], v[2:3]
	v_add_f64 v[26:27], v[6:7], -v[4:5]
	v_add_f64 v[34:35], v[16:17], v[20:21]
	v_add_f64 v[32:33], v[14:15], v[18:19]
	;; [unrolled: 1-line block ×4, first 2 shown]
	v_add_f64 v[6:7], v[14:15], -v[18:19]
	v_add_f64 v[10:11], v[16:17], -v[20:21]
	;; [unrolled: 1-line block ×3, first 2 shown]
	v_add_f64 v[40:41], v[0:1], v[2:3]
	v_add_f64 v[14:15], v[26:27], v[28:29]
	v_add_f64 v[16:17], v[26:27], -v[28:29]
	v_add_f64 v[24:25], v[34:35], v[36:37]
	v_add_f64 v[18:19], v[30:31], -v[26:27]
	v_add_f64 v[20:21], v[32:33], -v[34:35]
	;; [unrolled: 1-line block ×5, first 2 shown]
	v_add_f64 v[42:43], v[6:7], v[10:11]
	v_add_f64 v[44:45], v[6:7], -v[10:11]
	v_add_f64 v[28:29], v[28:29], -v[30:31]
	;; [unrolled: 1-line block ×3, first 2 shown]
	v_add_f64 v[24:25], v[32:33], v[24:25]
	v_add_f64 v[4:5], v[4:5], v[40:41]
	v_add_f64 v[6:7], v[12:13], -v[6:7]
	v_add_f64 v[34:35], v[34:35], -v[36:37]
	;; [unrolled: 1-line block ×3, first 2 shown]
	v_add_f64 v[14:15], v[14:15], v[30:31]
	v_mul_f64 v[16:17], v[16:17], s[14:15]
	v_mul_f64 v[30:31], v[20:21], s[0:1]
	;; [unrolled: 1-line block ×5, first 2 shown]
	v_add_f64 v[12:13], v[42:43], v[12:13]
	v_mul_f64 v[40:41], v[44:45], s[14:15]
	v_mul_f64 v[42:43], v[28:29], s[6:7]
	;; [unrolled: 1-line block ×3, first 2 shown]
	v_add_f64 v[2:3], v[52:53], v[24:25]
	v_add_f64 v[0:1], v[8:9], v[4:5]
	v_fma_f64 v[46:47], v[18:19], s[22:23], v[16:17]
	v_fma_f64 v[20:21], v[20:21], s[0:1], v[22:23]
	;; [unrolled: 1-line block ×4, first 2 shown]
	v_fma_f64 v[18:19], v[18:19], s[26:27], -v[42:43]
	v_fma_f64 v[22:23], v[34:35], s[18:19], -v[22:23]
	;; [unrolled: 1-line block ×8, first 2 shown]
	v_fma_f64 v[24:25], v[24:25], s[8:9], v[2:3]
	v_fma_f64 v[4:5], v[4:5], s[8:9], v[0:1]
	;; [unrolled: 1-line block ×8, first 2 shown]
	v_add_f64 v[44:45], v[20:21], v[24:25]
	v_add_f64 v[46:47], v[26:27], v[4:5]
	;; [unrolled: 1-line block ×6, first 2 shown]
	v_mov_b32_e32 v30, v59
	v_add_co_u32_e32 v48, vcc, v57, v54
	v_mov_b32_e32 v57, v60
	v_add_f64 v[6:7], v[32:33], v[44:45]
	v_add_f64 v[10:11], v[36:37], v[20:21]
	v_add_f64 v[8:9], v[26:27], -v[40:41]
	v_add_f64 v[14:15], v[18:19], -v[16:17]
	v_add_f64 v[12:13], v[42:43], v[22:23]
	v_add_f64 v[18:19], v[16:17], v[18:19]
	v_add_f64 v[16:17], v[22:23], -v[42:43]
	v_add_f64 v[22:23], v[20:21], -v[36:37]
	v_add_f64 v[20:21], v[40:41], v[26:27]
	v_add_f64 v[26:27], v[44:45], -v[32:33]
	v_mad_u64_u32 v[30:31], s[0:1], s21, v71, v[30:31]
	v_add_u32_e32 v33, 0x16c, v88
	v_lshlrev_b64 v[28:29], 4, v[56:57]
	v_add_f64 v[24:25], v[34:35], v[46:47]
	v_mad_u64_u32 v[31:32], s[0:1], s20, v33, 0
	v_addc_co_u32_e32 v49, vcc, v72, v55, vcc
	v_add_co_u32_e32 v28, vcc, v48, v28
	v_addc_co_u32_e32 v29, vcc, v49, v29, vcc
	v_mov_b32_e32 v59, v30
	global_store_dwordx4 v[28:29], v[0:3], off
	v_add_f64 v[4:5], v[46:47], -v[34:35]
	v_lshlrev_b64 v[0:1], 4, v[58:59]
	v_mov_b32_e32 v2, v32
	v_mad_u64_u32 v[2:3], s[0:1], s21, v33, v[2:3]
	v_add_co_u32_e32 v0, vcc, v48, v0
	v_addc_co_u32_e32 v1, vcc, v49, v1, vcc
	global_store_dwordx4 v[0:1], v[24:27], off
	v_mov_b32_e32 v32, v2
	v_add_u32_e32 v24, 0x222, v88
	v_mad_u64_u32 v[2:3], s[0:1], s20, v24, 0
	v_add_u32_e32 v27, 0x2d8, v88
	v_lshlrev_b64 v[0:1], 4, v[31:32]
	v_mad_u64_u32 v[24:25], s[0:1], s21, v24, v[3:4]
	v_mad_u64_u32 v[25:26], s[0:1], s20, v27, 0
	v_add_co_u32_e32 v0, vcc, v48, v0
	v_addc_co_u32_e32 v1, vcc, v49, v1, vcc
	v_mov_b32_e32 v3, v24
	global_store_dwordx4 v[0:1], v[20:23], off
	v_lshlrev_b64 v[0:1], 4, v[2:3]
	v_mov_b32_e32 v2, v26
	v_mad_u64_u32 v[2:3], s[0:1], s21, v27, v[2:3]
	v_add_co_u32_e32 v0, vcc, v48, v0
	v_addc_co_u32_e32 v1, vcc, v49, v1, vcc
	global_store_dwordx4 v[0:1], v[16:19], off
	v_mov_b32_e32 v26, v2
	v_add_u32_e32 v16, 0x38e, v88
	v_mad_u64_u32 v[2:3], s[0:1], s20, v16, 0
	v_add_u32_e32 v19, 0x444, v88
	v_lshlrev_b64 v[0:1], 4, v[25:26]
	v_mad_u64_u32 v[16:17], s[0:1], s21, v16, v[3:4]
	v_mad_u64_u32 v[17:18], s[0:1], s20, v19, 0
	v_add_co_u32_e32 v0, vcc, v48, v0
	v_addc_co_u32_e32 v1, vcc, v49, v1, vcc
	v_mov_b32_e32 v3, v16
	global_store_dwordx4 v[0:1], v[12:15], off
	v_lshlrev_b64 v[0:1], 4, v[2:3]
	v_mov_b32_e32 v2, v18
	v_mad_u64_u32 v[2:3], s[0:1], s21, v19, v[2:3]
	v_add_co_u32_e32 v0, vcc, v48, v0
	v_addc_co_u32_e32 v1, vcc, v49, v1, vcc
	v_mov_b32_e32 v18, v2
	global_store_dwordx4 v[0:1], v[8:11], off
	v_lshlrev_b64 v[0:1], 4, v[17:18]
	v_add_co_u32_e32 v0, vcc, v48, v0
	v_addc_co_u32_e32 v1, vcc, v49, v1, vcc
	global_store_dwordx4 v[0:1], v[4:7], off
.LBB0_29:
	s_endpgm
	.section	.rodata,"a",@progbits
	.p2align	6, 0x0
	.amdhsa_kernel fft_rtc_fwd_len1274_factors_2_13_7_7_wgs_182_tpt_182_halfLds_dp_op_CI_CI_sbrr_dirReg
		.amdhsa_group_segment_fixed_size 0
		.amdhsa_private_segment_fixed_size 0
		.amdhsa_kernarg_size 104
		.amdhsa_user_sgpr_count 6
		.amdhsa_user_sgpr_private_segment_buffer 1
		.amdhsa_user_sgpr_dispatch_ptr 0
		.amdhsa_user_sgpr_queue_ptr 0
		.amdhsa_user_sgpr_kernarg_segment_ptr 1
		.amdhsa_user_sgpr_dispatch_id 0
		.amdhsa_user_sgpr_flat_scratch_init 0
		.amdhsa_user_sgpr_private_segment_size 0
		.amdhsa_uses_dynamic_stack 0
		.amdhsa_system_sgpr_private_segment_wavefront_offset 0
		.amdhsa_system_sgpr_workgroup_id_x 1
		.amdhsa_system_sgpr_workgroup_id_y 0
		.amdhsa_system_sgpr_workgroup_id_z 0
		.amdhsa_system_sgpr_workgroup_info 0
		.amdhsa_system_vgpr_workitem_id 0
		.amdhsa_next_free_vgpr 123
		.amdhsa_next_free_sgpr 46
		.amdhsa_reserve_vcc 1
		.amdhsa_reserve_flat_scratch 0
		.amdhsa_float_round_mode_32 0
		.amdhsa_float_round_mode_16_64 0
		.amdhsa_float_denorm_mode_32 3
		.amdhsa_float_denorm_mode_16_64 3
		.amdhsa_dx10_clamp 1
		.amdhsa_ieee_mode 1
		.amdhsa_fp16_overflow 0
		.amdhsa_exception_fp_ieee_invalid_op 0
		.amdhsa_exception_fp_denorm_src 0
		.amdhsa_exception_fp_ieee_div_zero 0
		.amdhsa_exception_fp_ieee_overflow 0
		.amdhsa_exception_fp_ieee_underflow 0
		.amdhsa_exception_fp_ieee_inexact 0
		.amdhsa_exception_int_div_zero 0
	.end_amdhsa_kernel
	.text
.Lfunc_end0:
	.size	fft_rtc_fwd_len1274_factors_2_13_7_7_wgs_182_tpt_182_halfLds_dp_op_CI_CI_sbrr_dirReg, .Lfunc_end0-fft_rtc_fwd_len1274_factors_2_13_7_7_wgs_182_tpt_182_halfLds_dp_op_CI_CI_sbrr_dirReg
                                        ; -- End function
	.section	.AMDGPU.csdata,"",@progbits
; Kernel info:
; codeLenInByte = 9676
; NumSgprs: 50
; NumVgprs: 123
; ScratchSize: 0
; MemoryBound: 1
; FloatMode: 240
; IeeeMode: 1
; LDSByteSize: 0 bytes/workgroup (compile time only)
; SGPRBlocks: 6
; VGPRBlocks: 30
; NumSGPRsForWavesPerEU: 50
; NumVGPRsForWavesPerEU: 123
; Occupancy: 2
; WaveLimiterHint : 1
; COMPUTE_PGM_RSRC2:SCRATCH_EN: 0
; COMPUTE_PGM_RSRC2:USER_SGPR: 6
; COMPUTE_PGM_RSRC2:TRAP_HANDLER: 0
; COMPUTE_PGM_RSRC2:TGID_X_EN: 1
; COMPUTE_PGM_RSRC2:TGID_Y_EN: 0
; COMPUTE_PGM_RSRC2:TGID_Z_EN: 0
; COMPUTE_PGM_RSRC2:TIDIG_COMP_CNT: 0
	.type	__hip_cuid_c5a4964cbb62dc00,@object ; @__hip_cuid_c5a4964cbb62dc00
	.section	.bss,"aw",@nobits
	.globl	__hip_cuid_c5a4964cbb62dc00
__hip_cuid_c5a4964cbb62dc00:
	.byte	0                               ; 0x0
	.size	__hip_cuid_c5a4964cbb62dc00, 1

	.ident	"AMD clang version 19.0.0git (https://github.com/RadeonOpenCompute/llvm-project roc-6.4.0 25133 c7fe45cf4b819c5991fe208aaa96edf142730f1d)"
	.section	".note.GNU-stack","",@progbits
	.addrsig
	.addrsig_sym __hip_cuid_c5a4964cbb62dc00
	.amdgpu_metadata
---
amdhsa.kernels:
  - .args:
      - .actual_access:  read_only
        .address_space:  global
        .offset:         0
        .size:           8
        .value_kind:     global_buffer
      - .offset:         8
        .size:           8
        .value_kind:     by_value
      - .actual_access:  read_only
        .address_space:  global
        .offset:         16
        .size:           8
        .value_kind:     global_buffer
      - .actual_access:  read_only
        .address_space:  global
        .offset:         24
        .size:           8
        .value_kind:     global_buffer
      - .actual_access:  read_only
        .address_space:  global
        .offset:         32
        .size:           8
        .value_kind:     global_buffer
      - .offset:         40
        .size:           8
        .value_kind:     by_value
      - .actual_access:  read_only
        .address_space:  global
        .offset:         48
        .size:           8
        .value_kind:     global_buffer
      - .actual_access:  read_only
        .address_space:  global
        .offset:         56
        .size:           8
        .value_kind:     global_buffer
      - .offset:         64
        .size:           4
        .value_kind:     by_value
      - .actual_access:  read_only
        .address_space:  global
        .offset:         72
        .size:           8
        .value_kind:     global_buffer
      - .actual_access:  read_only
        .address_space:  global
        .offset:         80
        .size:           8
        .value_kind:     global_buffer
      - .actual_access:  read_only
        .address_space:  global
        .offset:         88
        .size:           8
        .value_kind:     global_buffer
      - .actual_access:  write_only
        .address_space:  global
        .offset:         96
        .size:           8
        .value_kind:     global_buffer
    .group_segment_fixed_size: 0
    .kernarg_segment_align: 8
    .kernarg_segment_size: 104
    .language:       OpenCL C
    .language_version:
      - 2
      - 0
    .max_flat_workgroup_size: 182
    .name:           fft_rtc_fwd_len1274_factors_2_13_7_7_wgs_182_tpt_182_halfLds_dp_op_CI_CI_sbrr_dirReg
    .private_segment_fixed_size: 0
    .sgpr_count:     50
    .sgpr_spill_count: 0
    .symbol:         fft_rtc_fwd_len1274_factors_2_13_7_7_wgs_182_tpt_182_halfLds_dp_op_CI_CI_sbrr_dirReg.kd
    .uniform_work_group_size: 1
    .uses_dynamic_stack: false
    .vgpr_count:     123
    .vgpr_spill_count: 0
    .wavefront_size: 64
amdhsa.target:   amdgcn-amd-amdhsa--gfx906
amdhsa.version:
  - 1
  - 2
...

	.end_amdgpu_metadata
